;; amdgpu-corpus repo=ROCm/rocFFT kind=compiled arch=gfx950 opt=O3
	.text
	.amdgcn_target "amdgcn-amd-amdhsa--gfx950"
	.amdhsa_code_object_version 6
	.protected	bluestein_single_fwd_len343_dim1_sp_op_CI_CI ; -- Begin function bluestein_single_fwd_len343_dim1_sp_op_CI_CI
	.globl	bluestein_single_fwd_len343_dim1_sp_op_CI_CI
	.p2align	8
	.type	bluestein_single_fwd_len343_dim1_sp_op_CI_CI,@function
bluestein_single_fwd_len343_dim1_sp_op_CI_CI: ; @bluestein_single_fwd_len343_dim1_sp_op_CI_CI
; %bb.0:
	s_load_dwordx4 s[16:19], s[0:1], 0x28
	v_mul_u32_u24_e32 v1, 0x53a, v0
	v_lshrrev_b32_e32 v2, 16, v1
	v_mad_u64_u32 v[22:23], s[2:3], s2, 5, v[2:3]
	v_mov_b32_e32 v23, 0
	s_waitcnt lgkmcnt(0)
	v_cmp_gt_u64_e32 vcc, s[16:17], v[22:23]
	s_and_saveexec_b64 s[2:3], vcc
	s_cbranch_execz .LBB0_2
; %bb.1:
	s_load_dwordx4 s[4:7], s[0:1], 0x18
	s_load_dwordx4 s[8:11], s[0:1], 0x0
	v_mul_lo_u16_e32 v1, 49, v2
	v_sub_u16_e32 v60, v0, v1
	v_mov_b32_e32 v4, s18
	s_waitcnt lgkmcnt(0)
	s_load_dwordx4 s[12:15], s[4:5], 0x0
	v_mov_b32_e32 v5, s19
	v_mov_b32_e32 v23, 0x188
	v_lshlrev_b32_e32 v63, 3, v60
	s_mov_b32 s20, 0x3eae86e6
	s_waitcnt lgkmcnt(0)
	v_mad_u64_u32 v[0:1], s[2:3], s14, v22, 0
	v_mov_b32_e32 v2, v1
	v_mad_u64_u32 v[2:3], s[2:3], s15, v22, v[2:3]
	v_mov_b32_e32 v1, v2
	v_mad_u64_u32 v[2:3], s[2:3], s12, v60, 0
	v_mov_b32_e32 v6, v3
	v_mad_u64_u32 v[6:7], s[2:3], s13, v60, v[6:7]
	v_mov_b32_e32 v3, v6
	v_lshl_add_u64 v[0:1], v[0:1], 3, v[4:5]
	v_lshl_add_u64 v[0:1], v[2:3], 3, v[0:1]
	global_load_dwordx2 v[2:3], v[0:1], off
	v_mad_u64_u32 v[0:1], s[2:3], s12, v23, v[0:1]
	s_mul_i32 s4, s13, 0x188
	v_add_u32_e32 v1, s4, v1
	v_mad_u64_u32 v[4:5], s[2:3], s12, v23, v[0:1]
	v_add_u32_e32 v5, s4, v5
	global_load_dwordx2 v[36:37], v63, s[8:9]
	global_load_dwordx2 v[34:35], v63, s[8:9] offset:392
	global_load_dwordx2 v[6:7], v[4:5], off
	v_mad_u64_u32 v[4:5], s[2:3], s12, v23, v[4:5]
	global_load_dwordx2 v[0:1], v[0:1], off
	v_add_u32_e32 v5, s4, v5
	global_load_dwordx2 v[32:33], v63, s[8:9] offset:784
	global_load_dwordx2 v[30:31], v63, s[8:9] offset:1176
	global_load_dwordx2 v[8:9], v[4:5], off
	v_mad_u64_u32 v[4:5], s[2:3], s12, v23, v[4:5]
	v_add_u32_e32 v5, s4, v5
	global_load_dwordx2 v[10:11], v[4:5], off
	global_load_dwordx2 v[28:29], v63, s[8:9] offset:1568
	v_mad_u64_u32 v[4:5], s[2:3], s12, v23, v[4:5]
	v_add_u32_e32 v5, s4, v5
	global_load_dwordx2 v[12:13], v[4:5], off
	global_load_dwordx2 v[26:27], v63, s[8:9] offset:1960
	v_mad_u64_u32 v[4:5], s[2:3], s12, v23, v[4:5]
	v_add_u32_e32 v5, s4, v5
	global_load_dwordx2 v[24:25], v63, s[8:9] offset:2352
	global_load_dwordx2 v[14:15], v[4:5], off
	s_mov_b32 s2, 0xcccccccd
	v_mul_hi_u32 v4, v22, s2
	v_lshrrev_b32_e32 v4, 2, v4
	v_lshl_add_u32 v4, v4, 2, v4
	v_sub_u32_e32 v4, v22, v4
	v_mul_u32_u24_e32 v4, 0x157, v4
	v_lshlrev_b32_e32 v74, 3, v4
	v_add_u32_e32 v61, v63, v74
	s_load_dwordx4 s[4:7], s[6:7], 0x0
	s_mov_b32 s12, 0x3d64c772
	s_mov_b32 s21, 0xbf08b237
	;; [unrolled: 1-line block ×11, first 2 shown]
	s_load_dwordx2 s[0:1], s[0:1], 0x38
	s_waitcnt vmcnt(12)
	v_mul_f32_e32 v4, v3, v37
	v_mul_f32_e32 v5, v2, v37
	v_fmac_f32_e32 v4, v2, v36
	v_fma_f32 v5, v3, v36, -v5
	s_waitcnt vmcnt(9)
	v_mul_f32_e32 v2, v1, v35
	v_mul_f32_e32 v3, v0, v35
	v_fmac_f32_e32 v2, v0, v34
	v_fma_f32 v3, v1, v34, -v3
	ds_write2_b64 v61, v[4:5], v[2:3] offset1:49
	s_waitcnt vmcnt(8)
	v_mul_f32_e32 v0, v7, v33
	v_mul_f32_e32 v1, v6, v33
	s_waitcnt vmcnt(6)
	v_mul_f32_e32 v2, v9, v31
	v_mul_f32_e32 v3, v8, v31
	v_fmac_f32_e32 v0, v6, v32
	v_fma_f32 v1, v7, v32, -v1
	v_fmac_f32_e32 v2, v8, v30
	v_fma_f32 v3, v9, v30, -v3
	ds_write2_b64 v61, v[0:1], v[2:3] offset0:98 offset1:147
	s_waitcnt vmcnt(4)
	v_mul_f32_e32 v0, v11, v29
	v_mul_f32_e32 v1, v10, v29
	s_waitcnt vmcnt(2)
	v_mul_f32_e32 v2, v13, v27
	v_mul_f32_e32 v3, v12, v27
	v_fmac_f32_e32 v0, v10, v28
	v_fma_f32 v1, v11, v28, -v1
	v_fmac_f32_e32 v2, v12, v26
	v_fma_f32 v3, v13, v26, -v3
	ds_write2_b64 v61, v[0:1], v[2:3] offset0:196 offset1:245
	s_waitcnt vmcnt(0)
	v_mul_f32_e32 v0, v15, v25
	v_mul_f32_e32 v1, v14, v25
	v_fmac_f32_e32 v0, v14, v24
	v_fma_f32 v1, v15, v24, -v1
	ds_write_b64 v61, v[0:1] offset:2352
	s_waitcnt lgkmcnt(0)
	s_barrier
	ds_read2_b64 v[0:3], v61 offset1:49
	ds_read_b64 v[12:13], v61 offset:2352
	ds_read2_b64 v[4:7], v61 offset0:98 offset1:147
	ds_read2_b64 v[8:11], v61 offset0:196 offset1:245
	v_mul_lo_u16_e32 v14, 7, v60
	v_lshl_add_u32 v62, v14, 3, v74
	s_waitcnt lgkmcnt(2)
	v_pk_add_f32 v[14:15], v[2:3], v[12:13]
	v_pk_add_f32 v[16:17], v[2:3], v[12:13] neg_lo:[0,1] neg_hi:[0,1]
	s_waitcnt lgkmcnt(0)
	v_pk_add_f32 v[18:19], v[4:5], v[10:11]
	v_pk_add_f32 v[20:21], v[4:5], v[10:11] neg_lo:[0,1] neg_hi:[0,1]
	v_mov_b32_e32 v4, v6
	v_mov_b32_e32 v10, v8
	;; [unrolled: 1-line block ×4, first 2 shown]
	v_pk_add_f32 v[4:5], v[4:5], v[10:11]
	v_pk_add_f32 v[2:3], v[2:3], v[12:13]
	v_pk_add_f32 v[6:7], v[8:9], v[6:7] neg_lo:[0,1] neg_hi:[0,1]
	v_mov_b32_e32 v19, v5
	v_mov_b32_e32 v14, v2
	;; [unrolled: 1-line block ×6, first 2 shown]
	v_pk_add_f32 v[8:9], v[18:19], v[14:15]
	v_pk_add_f32 v[10:11], v[10:11], v[12:13] neg_lo:[0,1] neg_hi:[0,1]
	v_pk_add_f32 v[12:13], v[2:3], v[4:5] neg_lo:[0,1] neg_hi:[0,1]
	v_mov_b32_e32 v40, v7
	v_mov_b32_e32 v41, v16
	v_mov_b32_e32 v42, v21
	v_mov_b32_e32 v43, v6
	v_mov_b32_e32 v5, v3
	v_pk_add_f32 v[38:39], v[6:7], v[20:21]
	v_pk_add_f32 v[40:41], v[40:41], v[42:43] neg_lo:[0,1] neg_hi:[0,1]
	v_mov_b32_e32 v42, v17
	v_mov_b32_e32 v6, v7
	;; [unrolled: 1-line block ×3, first 2 shown]
	v_pk_add_f32 v[2:3], v[4:5], v[8:9]
	v_pk_add_f32 v[6:7], v[42:43], v[6:7] neg_lo:[0,1] neg_hi:[0,1]
	v_pk_add_f32 v[4:5], v[38:39], v[16:17]
	v_pk_add_f32 v[0:1], v[2:3], v[0:1]
	v_pk_mul_f32 v[8:9], v[10:11], s[12:13]
	v_pk_mul_f32 v[40:41], v[40:41], s[24:25]
	;; [unrolled: 1-line block ×3, first 2 shown]
	v_pk_mul_f32 v[38:39], v[4:5], s[18:19] op_sel_hi:[1,0]
	v_pk_mul_f32 v[42:43], v[6:7], s[20:21]
	v_pk_fma_f32 v[2:3], v[2:3], s[2:3], v[0:1] op_sel_hi:[1,0,1] neg_lo:[1,0,0] neg_hi:[1,0,0]
	v_pk_fma_f32 v[12:13], v[12:13], s[14:15], v[8:9]
	v_pk_fma_f32 v[6:7], v[6:7], s[20:21], v[40:41]
	v_pk_add_f32 v[12:13], v[12:13], v[2:3]
	v_pk_add_f32 v[6:7], v[38:39], v[6:7] op_sel:[1,0] op_sel_hi:[0,1]
	s_barrier
	ds_write_b64 v62, v[0:1]
	v_pk_add_f32 v[0:1], v[18:19], v[14:15] neg_lo:[0,1] neg_hi:[0,1]
	v_mov_b32_e32 v14, v10
	v_mov_b32_e32 v15, v9
	;; [unrolled: 1-line block ×3, first 2 shown]
	v_pk_add_f32 v[38:39], v[12:13], v[6:7]
	v_pk_add_f32 v[6:7], v[12:13], v[6:7] neg_lo:[0,1] neg_hi:[0,1]
	v_pk_add_f32 v[12:13], v[20:21], v[16:17] neg_lo:[0,1] neg_hi:[0,1]
	v_pk_fma_f32 v[14:15], v[0:1], s[16:17], v[14:15] op_sel_hi:[1,0,1] neg_lo:[1,0,1] neg_hi:[1,0,1]
	v_pk_fma_f32 v[0:1], v[0:1], s[16:17], v[8:9] op_sel_hi:[1,0,1] neg_lo:[0,0,1] neg_hi:[0,0,1]
	v_mov_b32_e32 v8, v43
	v_mov_b32_e32 v9, v40
	;; [unrolled: 1-line block ×4, first 2 shown]
	v_pk_fma_f32 v[8:9], v[12:13], s[22:23], v[8:9] op_sel_hi:[1,0,1] neg_lo:[0,0,1] neg_hi:[0,0,1]
	v_pk_fma_f32 v[16:17], v[12:13], s[22:23], v[16:17] op_sel_hi:[1,0,1] neg_lo:[1,0,1] neg_hi:[1,0,1]
	v_pk_add_f32 v[14:15], v[14:15], v[2:3]
	v_pk_add_f32 v[0:1], v[0:1], v[2:3]
	v_pk_fma_f32 v[2:3], v[4:5], s[18:19], v[8:9] op_sel_hi:[1,0,1]
	v_pk_fma_f32 v[16:17], v[4:5], s[18:19], v[16:17] op_sel_hi:[1,0,1]
	v_pk_add_f32 v[4:5], v[0:1], v[2:3] op_sel:[0,1] op_sel_hi:[1,0] neg_lo:[0,1] neg_hi:[0,1]
	v_pk_add_f32 v[0:1], v[0:1], v[2:3] op_sel:[0,1] op_sel_hi:[1,0]
	v_mov_b32_e32 v2, v4
	v_mov_b32_e32 v3, v1
	;; [unrolled: 1-line block ×3, first 2 shown]
	ds_write2_b64 v62, v[2:3], v[0:1] offset0:3 offset1:4
	v_mov_b32_e32 v0, 37
	v_mul_lo_u16_sdwa v0, v60, v0 dst_sel:DWORD dst_unused:UNUSED_PAD src0_sel:BYTE_0 src1_sel:DWORD
	v_sub_u16_sdwa v1, v60, v0 dst_sel:DWORD dst_unused:UNUSED_PAD src0_sel:DWORD src1_sel:BYTE_1
	v_lshrrev_b16_e32 v1, 1, v1
	v_and_b32_e32 v1, 0x7f, v1
	v_add_u16_sdwa v0, v1, v0 dst_sel:DWORD dst_unused:UNUSED_PAD src0_sel:DWORD src1_sel:BYTE_1
	v_lshrrev_b16_e32 v75, 2, v0
	v_mul_lo_u16_e32 v0, 7, v75
	v_sub_u16_e32 v76, v60, v0
	v_mov_b32_e32 v0, 6
	v_pk_add_f32 v[18:19], v[14:15], v[16:17] op_sel:[0,1] op_sel_hi:[1,0]
	v_pk_add_f32 v[14:15], v[14:15], v[16:17] op_sel:[0,1] op_sel_hi:[1,0] neg_lo:[0,1] neg_hi:[0,1]
	v_mul_u32_u24_sdwa v0, v76, v0 dst_sel:DWORD dst_unused:UNUSED_PAD src0_sel:BYTE_0 src1_sel:DWORD
	v_mov_b32_e32 v16, v38
	v_mov_b32_e32 v17, v7
	;; [unrolled: 1-line block ×6, first 2 shown]
	v_lshlrev_b32_e32 v12, 3, v0
	ds_write2_b64 v62, v[16:17], v[20:21] offset0:1 offset1:2
	ds_write2_b64 v62, v[14:15], v[6:7] offset0:5 offset1:6
	s_waitcnt lgkmcnt(0)
	s_barrier
	global_load_dwordx4 v[0:3], v12, s[10:11]
	global_load_dwordx4 v[8:11], v12, s[10:11] offset:16
	global_load_dwordx4 v[4:7], v12, s[10:11] offset:32
	ds_read2_b64 v[12:15], v61 offset1:49
	ds_read2_b64 v[16:19], v61 offset0:98 offset1:147
	ds_read2_b64 v[48:51], v61 offset0:196 offset1:245
	ds_read_b64 v[42:43], v61 offset:2352
	s_waitcnt lgkmcnt(0)
	v_mov_b32_e32 v20, v15
	v_mov_b32_e32 v40, v16
	;; [unrolled: 1-line block ×5, first 2 shown]
	s_barrier
	s_waitcnt vmcnt(2)
	v_mov_b32_e32 v38, v3
	s_waitcnt vmcnt(1)
	v_mov_b32_e32 v39, v8
	v_mul_f32_e32 v21, v17, v3
	v_fma_f32 v53, v16, v2, -v21
	v_pk_mul_f32 v[38:39], v[40:41], v[38:39]
	v_mov_b32_e32 v16, v19
	v_mov_b32_e32 v40, v9
	;; [unrolled: 1-line block ×4, first 2 shown]
	v_pk_fma_f32 v[54:55], v[16:17], v[40:41], v[38:39] op_sel:[0,0,1] op_sel_hi:[1,1,0] neg_lo:[1,0,0] neg_hi:[1,0,0]
	v_pk_fma_f32 v[16:17], v[16:17], v[44:45], v[38:39] op_sel:[0,0,1] op_sel_hi:[1,1,0]
	v_pk_mul_f32 v[38:39], v[14:15], v[0:1] op_sel:[1,0] op_sel_hi:[0,1]
	v_mov_b32_e32 v15, v19
	v_mov_b32_e32 v21, v18
	s_waitcnt vmcnt(0)
	v_pk_mul_f32 v[18:19], v[42:43], v[6:7] op_sel:[1,0] op_sel_hi:[0,1]
	v_mov_b32_e32 v40, v38
	v_mov_b32_e32 v41, v18
	;; [unrolled: 1-line block ×4, first 2 shown]
	v_pk_add_f32 v[18:19], v[40:41], v[18:19]
	v_mov_b32_e32 v45, v48
	v_mov_b32_e32 v40, v7
	;; [unrolled: 1-line block ×6, first 2 shown]
	v_pk_mul_f32 v[44:45], v[44:45], v[40:41]
	v_mov_b32_e32 v46, v1
	v_mov_b32_e32 v47, v9
	v_pk_fma_f32 v[56:57], v[42:43], v[38:39], v[44:45] neg_lo:[0,0,1] neg_hi:[0,0,1]
	v_pk_fma_f32 v[58:59], v[42:43], v[38:39], v[44:45]
	v_mov_b32_e32 v44, v0
	v_mov_b32_e32 v45, v8
	v_pk_mul_f32 v[20:21], v[20:21], v[46:47]
	v_mov_b32_e32 v16, v19
	v_pk_fma_f32 v[64:65], v[14:15], v[44:45], v[20:21] neg_lo:[0,0,1] neg_hi:[0,0,1]
	v_pk_add_f32 v[66:67], v[18:19], v[16:17]
	v_mov_b32_e32 v42, v18
	v_mov_b32_e32 v43, v64
	;; [unrolled: 1-line block ×4, first 2 shown]
	v_mul_f32_e32 v16, v51, v5
	v_pk_add_f32 v[18:19], v[42:43], v[18:19] neg_lo:[0,1] neg_hi:[0,1]
	v_mov_b32_e32 v42, v11
	v_mov_b32_e32 v43, v4
	v_fma_f32 v71, v50, v4, -v16
	v_mov_b32_e32 v50, v49
	v_pk_mul_f32 v[50:51], v[50:51], v[42:43]
	v_pk_fma_f32 v[14:15], v[14:15], v[44:45], v[20:21]
	v_pk_fma_f32 v[72:73], v[48:49], v[10:11], v[50:51] neg_lo:[0,0,1] neg_hi:[0,0,1]
	v_mov_b32_e32 v48, v10
	v_mov_b32_e32 v49, v5
	v_pk_fma_f32 v[10:11], v[68:69], v[48:49], v[50:51]
	v_mov_b32_e32 v52, v17
	v_mov_b32_e32 v70, v11
	;; [unrolled: 1-line block ×9, first 2 shown]
	v_pk_add_f32 v[16:17], v[52:53], v[70:71] neg_lo:[0,1] neg_hi:[0,1]
	v_pk_add_f32 v[14:15], v[50:51], v[14:15] neg_lo:[0,1] neg_hi:[0,1]
	v_add_f32_e32 v10, v53, v71
	v_mov_b32_e32 v57, v59
	v_pk_add_f32 v[52:53], v[54:55], v[72:73]
	v_mov_b32_e32 v50, v14
	v_mov_b32_e32 v51, v19
	v_mov_b32_e32 v54, v16
	v_mov_b32_e32 v55, v15
	v_pk_add_f32 v[20:21], v[64:65], v[56:57]
	v_pk_add_f32 v[50:51], v[50:51], v[54:55] neg_lo:[0,1] neg_hi:[0,1]
	v_mov_b32_e32 v54, v18
	v_pk_add_f32 v[56:57], v[14:15], v[16:17]
	v_mov_b32_e32 v15, v17
	v_mov_b32_e32 v11, v66
	v_pk_add_f32 v[14:15], v[54:55], v[14:15] neg_lo:[0,1] neg_hi:[0,1]
	v_pk_add_f32 v[54:55], v[52:53], v[10:11]
	v_add_f32_e32 v58, v10, v20
	v_mov_b32_e32 v59, v21
	v_mov_b32_e32 v54, v52
	v_pk_add_f32 v[54:55], v[58:59], v[54:55]
	v_mov_b32_e32 v58, v52
	v_mov_b32_e32 v59, v66
	;; [unrolled: 1-line block ×3, first 2 shown]
	v_pk_add_f32 v[58:59], v[58:59], v[10:11] neg_lo:[0,1] neg_hi:[0,1]
	v_pk_add_f32 v[12:13], v[54:55], v[12:13]
	v_pk_mul_f32 v[58:59], v[58:59], s[12:13]
	v_pk_mul_f32 v[50:51], v[50:51], s[24:25]
	v_pk_add_f32 v[68:69], v[20:21], v[52:53] neg_lo:[0,1] neg_hi:[0,1]
	v_pk_add_f32 v[56:57], v[56:57], v[18:19]
	v_pk_fma_f32 v[54:55], v[54:55], s[2:3], v[12:13] op_sel_hi:[1,0,1] neg_lo:[1,0,0] neg_hi:[1,0,0]
	v_pk_fma_f32 v[64:65], v[68:69], s[14:15], v[58:59]
	v_pk_fma_f32 v[70:71], v[14:15], s[20:21], v[50:51]
	v_pk_add_f32 v[64:65], v[64:65], v[54:55]
	v_pk_fma_f32 v[70:71], v[56:57], s[18:19], v[70:71] op_sel_hi:[1,0,1]
	v_mul_u32_u24_e32 v11, 49, v75
	v_pk_add_f32 v[72:73], v[64:65], v[70:71]
	v_pk_add_f32 v[70:71], v[64:65], v[70:71] neg_lo:[0,1] neg_hi:[0,1]
	v_add_u32_sdwa v11, v11, v76 dst_sel:DWORD dst_unused:UNUSED_PAD src0_sel:DWORD src1_sel:BYTE_0
	v_lshl_add_u32 v64, v11, 3, v74
	v_mov_b32_e32 v74, v72
	v_mov_b32_e32 v75, v71
	ds_write2_b64 v64, v[12:13], v[74:75] offset1:7
	v_mov_b32_e32 v11, v53
	v_mov_b32_e32 v21, v66
	v_pk_add_f32 v[12:13], v[16:17], v[18:19] neg_lo:[0,1] neg_hi:[0,1]
	v_pk_mul_f32 v[16:17], v[68:69], s[14:15]
	v_pk_mul_f32 v[14:15], v[14:15], s[20:21]
	v_pk_add_f32 v[10:11], v[10:11], v[20:21] neg_lo:[0,1] neg_hi:[0,1]
	v_mov_b32_e32 v18, v16
	v_mov_b32_e32 v19, v59
	;; [unrolled: 1-line block ×6, first 2 shown]
	v_pk_fma_f32 v[18:19], v[10:11], s[16:17], v[18:19] op_sel_hi:[1,0,1] neg_lo:[1,0,1] neg_hi:[1,0,1]
	v_pk_fma_f32 v[20:21], v[12:13], s[22:23], v[20:21] op_sel_hi:[1,0,1] neg_lo:[1,0,1] neg_hi:[1,0,1]
	v_pk_fma_f32 v[10:11], v[10:11], s[16:17], v[58:59] op_sel_hi:[1,0,1] neg_lo:[0,0,1] neg_hi:[0,0,1]
	v_pk_fma_f32 v[12:13], v[12:13], s[22:23], v[50:51] op_sel_hi:[1,0,1] neg_lo:[0,0,1] neg_hi:[0,0,1]
	v_pk_add_f32 v[18:19], v[18:19], v[54:55]
	v_pk_fma_f32 v[20:21], v[56:57], s[18:19], v[20:21] op_sel_hi:[1,0,1]
	v_pk_add_f32 v[10:11], v[10:11], v[54:55]
	v_pk_fma_f32 v[12:13], v[56:57], s[18:19], v[12:13] op_sel_hi:[1,0,1]
	v_pk_add_f32 v[52:53], v[18:19], v[20:21]
	v_pk_add_f32 v[18:19], v[18:19], v[20:21] neg_lo:[0,1] neg_hi:[0,1]
	v_pk_add_f32 v[14:15], v[10:11], v[12:13] neg_lo:[0,1] neg_hi:[0,1]
	v_pk_add_f32 v[10:11], v[10:11], v[12:13]
	v_mov_b32_e32 v12, v52
	v_mov_b32_e32 v13, v19
	;; [unrolled: 1-line block ×4, first 2 shown]
	v_mad_u64_u32 v[50:51], s[10:11], v60, 48, s[10:11]
	v_mov_b32_e32 v11, v15
	v_mov_b32_e32 v19, v53
	;; [unrolled: 1-line block ×3, first 2 shown]
	ds_write2_b64 v64, v[12:13], v[16:17] offset0:14 offset1:21
	ds_write2_b64 v64, v[10:11], v[18:19] offset0:28 offset1:35
	ds_write_b64 v64, v[70:71] offset:336
	s_waitcnt lgkmcnt(0)
	s_barrier
	global_load_dwordx4 v[10:13], v[50:51], off offset:336
	global_load_dwordx4 v[14:17], v[50:51], off offset:352
	;; [unrolled: 1-line block ×3, first 2 shown]
	ds_read2_b64 v[50:53], v61 offset0:98 offset1:147
	ds_read2_b64 v[66:69], v61 offset1:49
	ds_read2_b64 v[70:73], v61 offset0:196 offset1:245
	s_mov_b32 s10, 0xbeae86e6
	s_mov_b32 s11, 0x3f08b237
	s_waitcnt lgkmcnt(2)
	v_mov_b32_e32 v56, v50
	v_mov_b32_e32 v57, v52
	s_waitcnt lgkmcnt(0)
	v_mov_b32_e32 v93, v72
	v_mov_b32_e32 v92, v70
	s_waitcnt vmcnt(2)
	v_mov_b32_e32 v54, v13
	s_waitcnt vmcnt(1)
	v_mov_b32_e32 v55, v14
	v_pk_mul_f32 v[54:55], v[56:57], v[54:55]
	v_mul_f32_e32 v56, v51, v13
	v_fma_f32 v75, v50, v12, -v56
	v_mov_b32_e32 v50, v53
	v_mov_b32_e32 v56, v15
	;; [unrolled: 1-line block ×4, first 2 shown]
	v_pk_fma_f32 v[76:77], v[50:51], v[58:59], v[54:55] op_sel:[0,0,1] op_sel_hi:[1,1,0] neg_lo:[1,0,0] neg_hi:[1,0,0]
	v_pk_fma_f32 v[78:79], v[50:51], v[56:57], v[54:55] op_sel:[0,0,1] op_sel_hi:[1,1,0]
	ds_read_b64 v[54:55], v61 offset:2352
	v_mov_b32_e32 v56, v69
	v_pk_mul_f32 v[50:51], v[68:69], v[10:11] op_sel:[1,0] op_sel_hi:[0,1]
	v_mov_b32_e32 v69, v53
	v_mov_b32_e32 v57, v52
	s_waitcnt vmcnt(0) lgkmcnt(0)
	v_pk_mul_f32 v[52:53], v[54:55], v[20:21] op_sel:[1,0] op_sel_hi:[0,1]
	v_mov_b32_e32 v58, v50
	v_mov_b32_e32 v59, v52
	;; [unrolled: 1-line block ×3, first 2 shown]
	v_pk_add_f32 v[80:81], v[58:59], v[52:53]
	v_mov_b32_e32 v58, v55
	v_mov_b32_e32 v59, v70
	;; [unrolled: 1-line block ×7, first 2 shown]
	v_pk_mul_f32 v[58:59], v[58:59], v[52:53]
	v_mul_f32_e32 v65, v73, v19
	v_pk_fma_f32 v[82:83], v[54:55], v[50:51], v[58:59] neg_lo:[0,0,1] neg_hi:[0,0,1]
	v_pk_fma_f32 v[84:85], v[54:55], v[50:51], v[58:59]
	v_mov_b32_e32 v54, v81
	v_mov_b32_e32 v58, v11
	;; [unrolled: 1-line block ×3, first 2 shown]
	v_pk_add_f32 v[86:87], v[80:81], v[54:55]
	v_mov_b32_e32 v54, v10
	v_mov_b32_e32 v55, v14
	v_pk_mul_f32 v[88:89], v[56:57], v[58:59]
	v_mov_b32_e32 v56, v80
	v_pk_fma_f32 v[90:91], v[68:69], v[54:55], v[88:89] neg_lo:[0,0,1] neg_hi:[0,0,1]
	v_mov_b32_e32 v80, v81
	v_mov_b32_e32 v57, v90
	;; [unrolled: 1-line block ×3, first 2 shown]
	v_pk_add_f32 v[80:81], v[56:57], v[80:81] neg_lo:[0,1] neg_hi:[0,1]
	v_mov_b32_e32 v56, v17
	v_mov_b32_e32 v57, v18
	v_fma_f32 v95, v72, v18, -v65
	v_mov_b32_e32 v72, v71
	v_pk_mul_f32 v[72:73], v[72:73], v[56:57]
	v_pk_fma_f32 v[68:69], v[68:69], v[54:55], v[88:89]
	v_pk_fma_f32 v[70:71], v[70:71], v[16:17], v[72:73] neg_lo:[0,0,1] neg_hi:[0,0,1]
	v_mov_b32_e32 v17, v19
	v_pk_fma_f32 v[72:73], v[92:93], v[16:17], v[72:73]
	v_mov_b32_e32 v91, v69
	v_mov_b32_e32 v83, v85
	;; [unrolled: 1-line block ×5, first 2 shown]
	v_pk_add_f32 v[78:79], v[90:91], v[82:83]
	v_mov_b32_e32 v82, v85
	v_mov_b32_e32 v83, v70
	;; [unrolled: 1-line block ×5, first 2 shown]
	v_add_f32_e32 v72, v75, v95
	v_pk_add_f32 v[74:75], v[74:75], v[94:95] neg_lo:[0,1] neg_hi:[0,1]
	v_pk_add_f32 v[68:69], v[82:83], v[68:69] neg_lo:[0,1] neg_hi:[0,1]
	v_pk_add_f32 v[70:71], v[76:77], v[70:71]
	v_mov_b32_e32 v76, v68
	v_mov_b32_e32 v77, v81
	;; [unrolled: 1-line block ×4, first 2 shown]
	v_pk_add_f32 v[76:77], v[76:77], v[82:83] neg_lo:[0,1] neg_hi:[0,1]
	v_mov_b32_e32 v82, v80
	v_pk_add_f32 v[84:85], v[68:69], v[74:75]
	v_mov_b32_e32 v69, v75
	v_mov_b32_e32 v65, v86
	v_pk_add_f32 v[68:69], v[82:83], v[68:69] neg_lo:[0,1] neg_hi:[0,1]
	v_pk_add_f32 v[82:83], v[70:71], v[64:65]
	v_add_f32_e32 v88, v72, v78
	v_mov_b32_e32 v89, v79
	v_mov_b32_e32 v82, v70
	v_pk_add_f32 v[82:83], v[88:89], v[82:83]
	v_mov_b32_e32 v88, v70
	v_mov_b32_e32 v89, v86
	;; [unrolled: 1-line block ×3, first 2 shown]
	v_pk_add_f32 v[88:89], v[88:89], v[72:73] neg_lo:[0,1] neg_hi:[0,1]
	v_pk_add_f32 v[66:67], v[82:83], v[66:67]
	v_pk_mul_f32 v[88:89], v[88:89], s[12:13]
	v_pk_mul_f32 v[76:77], v[76:77], s[24:25]
	v_pk_add_f32 v[90:91], v[78:79], v[70:71] neg_lo:[0,1] neg_hi:[0,1]
	v_pk_add_f32 v[84:85], v[84:85], v[80:81]
	v_pk_fma_f32 v[82:83], v[82:83], s[2:3], v[66:67] op_sel_hi:[1,0,1] neg_lo:[1,0,0] neg_hi:[1,0,0]
	v_pk_fma_f32 v[92:93], v[90:91], s[14:15], v[88:89]
	v_pk_fma_f32 v[94:95], v[68:69], s[20:21], v[76:77]
	v_pk_add_f32 v[92:93], v[92:93], v[82:83]
	v_pk_fma_f32 v[94:95], v[84:85], s[18:19], v[94:95] op_sel_hi:[1,0,1]
	v_mov_b32_e32 v73, v71
	v_pk_add_f32 v[96:97], v[92:93], v[94:95]
	v_pk_add_f32 v[92:93], v[92:93], v[94:95] neg_lo:[0,1] neg_hi:[0,1]
	v_mov_b32_e32 v94, v96
	v_mov_b32_e32 v95, v93
	;; [unrolled: 1-line block ×3, first 2 shown]
	ds_write2_b64 v61, v[66:67], v[94:95] offset1:49
	v_pk_add_f32 v[66:67], v[72:73], v[78:79] neg_lo:[0,1] neg_hi:[0,1]
	v_pk_mul_f32 v[72:73], v[90:91], s[14:15]
	v_pk_mul_f32 v[68:69], v[68:69], s[20:21]
	v_pk_add_f32 v[70:71], v[74:75], v[80:81] neg_lo:[0,1] neg_hi:[0,1]
	v_mov_b32_e32 v74, v72
	v_mov_b32_e32 v75, v89
	;; [unrolled: 1-line block ×6, first 2 shown]
	v_pk_fma_f32 v[74:75], v[66:67], s[16:17], v[74:75] op_sel_hi:[1,0,1] neg_lo:[1,0,1] neg_hi:[1,0,1]
	v_pk_fma_f32 v[78:79], v[70:71], s[22:23], v[78:79] op_sel_hi:[1,0,1] neg_lo:[1,0,1] neg_hi:[1,0,1]
	;; [unrolled: 1-line block ×4, first 2 shown]
	v_pk_add_f32 v[74:75], v[74:75], v[82:83]
	v_pk_fma_f32 v[78:79], v[84:85], s[18:19], v[78:79] op_sel_hi:[1,0,1]
	v_pk_add_f32 v[66:67], v[66:67], v[82:83]
	v_pk_fma_f32 v[68:69], v[84:85], s[18:19], v[68:69] op_sel_hi:[1,0,1]
	v_pk_add_f32 v[80:81], v[74:75], v[78:79]
	v_pk_add_f32 v[74:75], v[74:75], v[78:79] neg_lo:[0,1] neg_hi:[0,1]
	v_pk_add_f32 v[70:71], v[66:67], v[68:69] neg_lo:[0,1] neg_hi:[0,1]
	v_pk_add_f32 v[66:67], v[66:67], v[68:69]
	v_mov_b32_e32 v68, v80
	v_mov_b32_e32 v69, v75
	;; [unrolled: 1-line block ×7, first 2 shown]
	ds_write2_b64 v61, v[68:69], v[72:73] offset0:98 offset1:147
	ds_write2_b64 v61, v[66:67], v[74:75] offset0:196 offset1:245
	ds_write_b64 v61, v[92:93] offset:2352
	s_waitcnt lgkmcnt(0)
	s_barrier
	global_load_dwordx2 v[70:71], v63, s[8:9] offset:2744
	s_add_u32 s8, s8, 0xab8
	s_addc_u32 s9, s9, 0
	global_load_dwordx2 v[72:73], v63, s[8:9] offset:392
	global_load_dwordx2 v[74:75], v63, s[8:9] offset:784
	;; [unrolled: 1-line block ×6, first 2 shown]
	ds_read2_b64 v[66:69], v61 offset1:49
	s_mov_b32 s20, s11
	s_mov_b32 s21, s10
	;; [unrolled: 1-line block ×4, first 2 shown]
	s_waitcnt vmcnt(6) lgkmcnt(0)
	v_mul_f32_e32 v63, v67, v71
	v_fma_f32 v84, v66, v70, -v63
	v_mul_f32_e32 v85, v66, v71
	s_waitcnt vmcnt(5)
	v_mul_f32_e32 v63, v69, v73
	v_mul_f32_e32 v71, v68, v73
	v_fmac_f32_e32 v85, v67, v70
	v_fma_f32 v70, v68, v72, -v63
	v_fmac_f32_e32 v71, v69, v72
	ds_read2_b64 v[66:69], v61 offset0:98 offset1:147
	s_waitcnt vmcnt(4) lgkmcnt(0)
	v_mul_f32_e32 v63, v67, v75
	v_fma_f32 v72, v66, v74, -v63
	v_mul_f32_e32 v73, v66, v75
	s_waitcnt vmcnt(3)
	v_mul_f32_e32 v63, v69, v77
	v_mul_f32_e32 v75, v68, v77
	v_fmac_f32_e32 v73, v67, v74
	v_fma_f32 v74, v68, v76, -v63
	v_fmac_f32_e32 v75, v69, v76
	ds_read2_b64 v[66:69], v61 offset0:196 offset1:245
	s_waitcnt vmcnt(2) lgkmcnt(0)
	v_mul_f32_e32 v63, v67, v79
	v_mul_f32_e32 v77, v66, v79
	v_fma_f32 v76, v66, v78, -v63
	v_fmac_f32_e32 v77, v67, v78
	ds_read_b64 v[78:79], v61 offset:2352
	s_waitcnt vmcnt(1)
	v_mul_f32_e32 v67, v68, v81
	v_mul_f32_e32 v63, v69, v81
	v_fmac_f32_e32 v67, v69, v80
	v_fma_f32 v66, v68, v80, -v63
	ds_write2_b64 v61, v[84:85], v[70:71] offset1:49
	ds_write2_b64 v61, v[72:73], v[74:75] offset0:98 offset1:147
	ds_write2_b64 v61, v[76:77], v[66:67] offset0:196 offset1:245
	s_waitcnt vmcnt(0) lgkmcnt(3)
	v_mul_f32_e32 v63, v79, v83
	v_mul_f32_e32 v67, v78, v83
	v_fma_f32 v66, v78, v82, -v63
	v_fmac_f32_e32 v67, v79, v82
	ds_write_b64 v61, v[66:67] offset:2352
	s_waitcnt lgkmcnt(0)
	s_barrier
	ds_read2_b64 v[66:69], v61 offset0:98 offset1:147
	ds_read2_b64 v[70:73], v61 offset0:196 offset1:245
	ds_read_b64 v[78:79], v61 offset:2352
	ds_read2_b64 v[74:77], v61 offset1:49
	s_waitcnt lgkmcnt(0)
	s_barrier
	v_pk_add_f32 v[80:81], v[66:67], v[72:73]
	v_pk_add_f32 v[82:83], v[66:67], v[72:73] neg_lo:[0,1] neg_hi:[0,1]
	v_mov_b32_e32 v66, v68
	v_mov_b32_e32 v72, v70
	v_pk_add_f32 v[84:85], v[76:77], v[78:79]
	v_pk_add_f32 v[86:87], v[76:77], v[78:79] neg_lo:[0,1] neg_hi:[0,1]
	v_mov_b32_e32 v77, v69
	v_mov_b32_e32 v79, v71
	v_pk_add_f32 v[66:67], v[66:67], v[72:73]
	v_pk_add_f32 v[68:69], v[70:71], v[68:69] neg_lo:[0,1] neg_hi:[0,1]
	v_pk_add_f32 v[70:71], v[76:77], v[78:79]
	v_mov_b32_e32 v72, v66
	v_mov_b32_e32 v73, v85
	;; [unrolled: 1-line block ×4, first 2 shown]
	v_pk_add_f32 v[72:73], v[72:73], v[76:77] neg_lo:[0,1] neg_hi:[0,1]
	v_mov_b32_e32 v76, v69
	v_mov_b32_e32 v77, v86
	;; [unrolled: 1-line block ×4, first 2 shown]
	v_pk_add_f32 v[76:77], v[76:77], v[78:79] neg_lo:[0,1] neg_hi:[0,1]
	v_mov_b32_e32 v78, v87
	v_mov_b32_e32 v88, v69
	;; [unrolled: 1-line block ×5, first 2 shown]
	v_pk_add_f32 v[78:79], v[78:79], v[88:89] neg_lo:[0,1] neg_hi:[0,1]
	v_pk_add_f32 v[88:89], v[70:71], v[66:67] neg_lo:[0,1] neg_hi:[0,1]
	v_mov_b32_e32 v67, v71
	v_pk_add_f32 v[70:71], v[80:81], v[84:85]
	v_pk_add_f32 v[68:69], v[68:69], v[82:83]
	;; [unrolled: 1-line block ×5, first 2 shown]
	v_pk_mul_f32 v[74:75], v[76:77], s[20:21]
	v_pk_mul_f32 v[76:77], v[68:69], s[8:9] op_sel_hi:[1,0]
	v_pk_fma_f32 v[90:91], v[78:79], s[10:11], v[74:75]
	v_pk_mul_f32 v[72:73], v[72:73], s[12:13]
	v_pk_add_f32 v[80:81], v[80:81], v[84:85] neg_lo:[0,1] neg_hi:[0,1]
	v_pk_mul_f32 v[84:85], v[88:89], s[14:15]
	v_pk_mul_f32 v[78:79], v[78:79], s[10:11]
	v_pk_add_f32 v[76:77], v[76:77], v[90:91] op_sel:[1,0] op_sel_hi:[0,1]
	v_pk_fma_f32 v[90:91], v[88:89], s[14:15], v[72:73]
	v_pk_add_f32 v[82:83], v[82:83], v[86:87] neg_lo:[0,1] neg_hi:[0,1]
	v_mov_b32_e32 v86, v84
	v_mov_b32_e32 v87, v73
	;; [unrolled: 1-line block ×7, first 2 shown]
	v_pk_fma_f32 v[66:67], v[66:67], s[2:3], v[70:71] op_sel_hi:[1,0,1] neg_lo:[1,0,0] neg_hi:[1,0,0]
	v_pk_fma_f32 v[86:87], v[80:81], s[16:17], v[86:87] op_sel_hi:[1,0,1] neg_lo:[1,0,1] neg_hi:[1,0,1]
	;; [unrolled: 1-line block ×5, first 2 shown]
	v_pk_add_f32 v[90:91], v[90:91], v[66:67]
	v_pk_add_f32 v[86:87], v[86:87], v[66:67]
	v_pk_fma_f32 v[88:89], v[68:69], s[8:9], v[88:89] op_sel_hi:[1,0,1]
	v_pk_add_f32 v[66:67], v[72:73], v[66:67]
	v_pk_fma_f32 v[68:69], v[68:69], s[8:9], v[74:75] op_sel_hi:[1,0,1]
	v_pk_add_f32 v[92:93], v[90:91], v[76:77]
	v_pk_add_f32 v[76:77], v[90:91], v[76:77] neg_lo:[0,1] neg_hi:[0,1]
	v_pk_add_f32 v[90:91], v[86:87], v[88:89] op_sel:[0,1] op_sel_hi:[1,0]
	v_pk_add_f32 v[86:87], v[86:87], v[88:89] op_sel:[0,1] op_sel_hi:[1,0] neg_lo:[0,1] neg_hi:[0,1]
	v_pk_add_f32 v[72:73], v[66:67], v[68:69] op_sel:[0,1] op_sel_hi:[1,0] neg_lo:[0,1] neg_hi:[0,1]
	v_pk_add_f32 v[66:67], v[66:67], v[68:69] op_sel:[0,1] op_sel_hi:[1,0]
	v_mov_b32_e32 v88, v92
	v_mov_b32_e32 v89, v77
	;; [unrolled: 1-line block ×9, first 2 shown]
	ds_write2_b64 v62, v[88:89], v[94:95] offset0:1 offset1:2
	ds_write2_b64 v62, v[68:69], v[66:67] offset0:3 offset1:4
	ds_write2_b64 v62, v[86:87], v[76:77] offset0:5 offset1:6
	ds_write_b64 v62, v[70:71]
	s_waitcnt lgkmcnt(0)
	s_barrier
	ds_read2_b64 v[66:69], v61 offset0:98 offset1:147
	v_mov_b32_e32 v75, v2
	v_mov_b32_e32 v74, v8
	s_waitcnt lgkmcnt(0)
	v_mul_f32_e32 v63, v3, v67
	v_fmac_f32_e32 v63, v2, v66
	v_mov_b32_e32 v2, v9
	v_mov_b32_e32 v70, v69
	v_mov_b32_e32 v71, v66
	v_pk_mul_f32 v[2:3], v[2:3], v[70:71]
	ds_read2_b64 v[70:73], v61 offset1:49
	v_mov_b32_e32 v66, v68
	v_pk_fma_f32 v[8:9], v[8:9], v[68:69], v[2:3] op_sel_hi:[0,1,1]
	v_pk_fma_f32 v[2:3], v[74:75], v[66:67], v[2:3] neg_lo:[0,0,1] neg_hi:[0,0,1]
	v_mov_b32_e32 v75, v69
	v_mov_b32_e32 v77, v68
	s_waitcnt lgkmcnt(0)
	v_mov_b32_e32 v76, v73
	ds_read2_b64 v[66:69], v61 offset0:196 offset1:245
	v_pk_mul_f32 v[46:47], v[46:47], v[76:77]
	v_mov_b32_e32 v74, v72
	v_pk_fma_f32 v[76:77], v[44:45], v[74:75], v[46:47]
	v_pk_fma_f32 v[44:45], v[44:45], v[74:75], v[46:47] neg_lo:[0,0,1] neg_hi:[0,0,1]
	ds_read_b64 v[74:75], v61 offset:2352
	s_waitcnt lgkmcnt(1)
	v_mov_b32_e32 v46, v66
	v_mov_b32_e32 v47, v68
	v_pk_mul_f32 v[46:47], v[48:49], v[46:47]
	v_mov_b32_e32 v48, v67
	v_mov_b32_e32 v49, v69
	v_pk_fma_f32 v[78:79], v[42:43], v[48:49], v[46:47]
	v_pk_fma_f32 v[42:43], v[42:43], v[48:49], v[46:47] neg_lo:[0,0,1] neg_hi:[0,0,1]
	v_mov_b32_e32 v49, v66
	s_waitcnt lgkmcnt(0)
	v_mov_b32_e32 v48, v75
	v_mov_b32_e32 v47, v67
	;; [unrolled: 1-line block ×3, first 2 shown]
	v_pk_mul_f32 v[40:41], v[40:41], v[48:49]
	v_mul_f32_e32 v5, v5, v69
	v_mul_f32_e32 v2, v7, v74
	v_pk_fma_f32 v[48:49], v[38:39], v[46:47], v[40:41]
	v_pk_fma_f32 v[38:39], v[38:39], v[46:47], v[40:41] neg_lo:[0,0,1] neg_hi:[0,0,1]
	v_mul_f32_e32 v1, v1, v72
	v_fmac_f32_e32 v5, v4, v68
	v_fma_f32 v6, v6, v75, -v2
	v_fma_f32 v0, v0, v73, -v1
	v_mov_b32_e32 v1, v76
	v_mov_b32_e32 v7, v48
	;; [unrolled: 1-line block ×6, first 2 shown]
	v_add_f32_e32 v41, v0, v6
	v_pk_add_f32 v[0:1], v[0:1], v[6:7] neg_lo:[0,1] neg_hi:[0,1]
	v_mov_b32_e32 v62, v3
	v_mov_b32_e32 v4, v43
	v_add_f32_e32 v2, v63, v5
	v_pk_add_f32 v[6:7], v[76:77], v[48:49]
	v_mov_b32_e32 v38, v39
	v_mov_b32_e32 v39, v78
	v_pk_add_f32 v[42:43], v[8:9], v[78:79]
	v_mov_b32_e32 v44, v45
	v_mov_b32_e32 v45, v8
	v_pk_add_f32 v[4:5], v[62:63], v[4:5] neg_lo:[0,1] neg_hi:[0,1]
	v_pk_add_f32 v[8:9], v[38:39], v[44:45] neg_lo:[0,1] neg_hi:[0,1]
	v_mov_b32_e32 v38, v42
	v_mov_b32_e32 v39, v41
	;; [unrolled: 1-line block ×4, first 2 shown]
	v_pk_add_f32 v[38:39], v[38:39], v[44:45] neg_lo:[0,1] neg_hi:[0,1]
	v_mov_b32_e32 v44, v8
	v_mov_b32_e32 v45, v1
	;; [unrolled: 1-line block ×4, first 2 shown]
	v_pk_add_f32 v[44:45], v[44:45], v[46:47] neg_lo:[0,1] neg_hi:[0,1]
	v_mov_b32_e32 v46, v0
	v_pk_add_f32 v[48:49], v[8:9], v[4:5]
	v_mov_b32_e32 v9, v5
	v_mov_b32_e32 v3, v43
	;; [unrolled: 1-line block ×3, first 2 shown]
	v_pk_add_f32 v[8:9], v[46:47], v[8:9] neg_lo:[0,1] neg_hi:[0,1]
	v_pk_add_f32 v[46:47], v[6:7], v[42:43] neg_lo:[0,1] neg_hi:[0,1]
	v_mov_b32_e32 v43, v7
	v_pk_add_f32 v[6:7], v[2:3], v[40:41]
	v_pk_mul_f32 v[38:39], v[38:39], s[12:13]
	v_pk_add_f32 v[6:7], v[42:43], v[6:7]
	v_pk_mul_f32 v[44:45], v[44:45], s[20:21]
	v_pk_add_f32 v[42:43], v[6:7], v[70:71]
	v_pk_add_f32 v[48:49], v[48:49], v[0:1]
	v_pk_fma_f32 v[6:7], v[6:7], s[2:3], v[42:43] op_sel_hi:[1,0,1] neg_lo:[1,0,0] neg_hi:[1,0,0]
	v_pk_fma_f32 v[62:63], v[46:47], s[14:15], v[38:39]
	v_pk_fma_f32 v[66:67], v[8:9], s[10:11], v[44:45]
	v_pk_add_f32 v[62:63], v[62:63], v[6:7]
	v_pk_fma_f32 v[66:67], v[48:49], s[8:9], v[66:67] op_sel_hi:[1,0,1]
	v_pk_add_f32 v[0:1], v[4:5], v[0:1] neg_lo:[0,1] neg_hi:[0,1]
	v_pk_add_f32 v[68:69], v[62:63], v[66:67]
	v_pk_add_f32 v[62:63], v[62:63], v[66:67] neg_lo:[0,1] neg_hi:[0,1]
	v_mov_b32_e32 v66, v68
	v_mov_b32_e32 v67, v63
	v_pk_mul_f32 v[4:5], v[46:47], s[14:15]
	v_pk_mul_f32 v[8:9], v[8:9], s[10:11]
	s_barrier
	ds_write2_b64 v64, v[42:43], v[66:67] offset1:7
	v_pk_add_f32 v[2:3], v[2:3], v[40:41] neg_lo:[0,1] neg_hi:[0,1]
	v_mov_b32_e32 v40, v4
	v_mov_b32_e32 v41, v39
	v_mov_b32_e32 v42, v8
	v_mov_b32_e32 v43, v45
	v_mov_b32_e32 v39, v5
	v_mov_b32_e32 v45, v9
	v_pk_fma_f32 v[40:41], v[2:3], s[16:17], v[40:41] op_sel_hi:[1,0,1] neg_lo:[1,0,1] neg_hi:[1,0,1]
	v_pk_fma_f32 v[42:43], v[0:1], s[18:19], v[42:43] op_sel_hi:[1,0,1] neg_lo:[1,0,1] neg_hi:[1,0,1]
	v_pk_fma_f32 v[2:3], v[2:3], s[16:17], v[38:39] op_sel_hi:[1,0,1] neg_lo:[0,0,1] neg_hi:[0,0,1]
	v_pk_fma_f32 v[0:1], v[0:1], s[18:19], v[44:45] op_sel_hi:[1,0,1] neg_lo:[0,0,1] neg_hi:[0,0,1]
	v_pk_add_f32 v[40:41], v[40:41], v[6:7]
	v_pk_fma_f32 v[42:43], v[48:49], s[8:9], v[42:43] op_sel_hi:[1,0,1]
	v_pk_add_f32 v[2:3], v[2:3], v[6:7]
	v_pk_fma_f32 v[0:1], v[48:49], s[8:9], v[0:1] op_sel_hi:[1,0,1]
	v_pk_add_f32 v[46:47], v[40:41], v[42:43]
	v_pk_add_f32 v[40:41], v[40:41], v[42:43] neg_lo:[0,1] neg_hi:[0,1]
	v_pk_add_f32 v[6:7], v[2:3], v[0:1] neg_lo:[0,1] neg_hi:[0,1]
	v_pk_add_f32 v[0:1], v[2:3], v[0:1]
	v_mov_b32_e32 v4, v46
	v_mov_b32_e32 v5, v41
	;; [unrolled: 1-line block ×7, first 2 shown]
	ds_write2_b64 v64, v[4:5], v[2:3] offset0:14 offset1:21
	ds_write2_b64 v64, v[0:1], v[40:41] offset0:28 offset1:35
	ds_write_b64 v64, v[62:63] offset:336
	s_waitcnt lgkmcnt(0)
	s_barrier
	ds_read2_b64 v[0:3], v61 offset0:98 offset1:147
	v_mov_b32_e32 v41, v12
	ds_read2_b64 v[4:7], v61 offset1:49
	v_mov_b32_e32 v40, v14
	ds_read_b64 v[44:45], v61 offset:2352
	s_waitcnt lgkmcnt(2)
	v_mul_f32_e32 v39, v13, v1
	v_fmac_f32_e32 v39, v12, v0
	v_mov_b32_e32 v12, v15
	v_mov_b32_e32 v42, v3
	;; [unrolled: 1-line block ×3, first 2 shown]
	v_pk_mul_f32 v[12:13], v[12:13], v[42:43]
	v_mov_b32_e32 v0, v2
	v_pk_fma_f32 v[42:43], v[14:15], v[2:3], v[12:13] op_sel_hi:[0,1,1]
	v_pk_fma_f32 v[0:1], v[40:41], v[0:1], v[12:13] neg_lo:[0,0,1] neg_hi:[0,0,1]
	ds_read2_b64 v[12:15], v61 offset0:196 offset1:245
	s_waitcnt lgkmcnt(2)
	v_mul_f32_e32 v0, v11, v6
	v_mov_b32_e32 v41, v2
	v_mov_b32_e32 v40, v7
	v_fma_f32 v10, v10, v7, -v0
	v_mov_b32_e32 v2, v6
	v_pk_mul_f32 v[6:7], v[58:59], v[40:41]
	s_waitcnt lgkmcnt(0)
	v_mov_b32_e32 v46, v12
	v_mov_b32_e32 v47, v14
	v_pk_fma_f32 v[40:41], v[54:55], v[2:3], v[6:7]
	v_pk_fma_f32 v[2:3], v[54:55], v[2:3], v[6:7] neg_lo:[0,0,1] neg_hi:[0,0,1]
	v_mov_b32_e32 v6, v13
	v_mov_b32_e32 v7, v15
	v_pk_mul_f32 v[16:17], v[16:17], v[46:47]
	v_mul_f32_e32 v15, v19, v15
	v_pk_fma_f32 v[46:47], v[56:57], v[6:7], v[16:17]
	v_pk_fma_f32 v[6:7], v[56:57], v[6:7], v[16:17] neg_lo:[0,0,1] neg_hi:[0,0,1]
	v_mov_b32_e32 v17, v12
	v_mov_b32_e32 v16, v45
	v_mov_b32_e32 v12, v44
	v_pk_mul_f32 v[16:17], v[52:53], v[16:17]
	v_mul_f32_e32 v0, v21, v44
	v_pk_fma_f32 v[48:49], v[50:51], v[12:13], v[16:17]
	v_pk_fma_f32 v[12:13], v[50:51], v[12:13], v[16:17] neg_lo:[0,0,1] neg_hi:[0,0,1]
	v_fmac_f32_e32 v15, v18, v14
	v_mov_b32_e32 v43, v1
	v_mov_b32_e32 v41, v3
	;; [unrolled: 1-line block ×4, first 2 shown]
	v_fma_f32 v16, v20, v45, -v0
	v_mov_b32_e32 v11, v40
	v_mov_b32_e32 v17, v48
	;; [unrolled: 1-line block ×4, first 2 shown]
	v_add_f32_e32 v21, v10, v16
	v_pk_add_f32 v[10:11], v[10:11], v[16:17] neg_lo:[0,1] neg_hi:[0,1]
	v_add_f32_e32 v0, v39, v15
	v_pk_add_f32 v[6:7], v[38:39], v[14:15] neg_lo:[0,1] neg_hi:[0,1]
	v_pk_add_f32 v[14:15], v[42:43], v[46:47]
	v_pk_add_f32 v[16:17], v[40:41], v[48:49]
	v_mov_b32_e32 v12, v13
	v_mov_b32_e32 v13, v46
	;; [unrolled: 1-line block ×4, first 2 shown]
	v_pk_add_f32 v[2:3], v[12:13], v[2:3] neg_lo:[0,1] neg_hi:[0,1]
	v_mov_b32_e32 v1, v15
	v_mov_b32_e32 v20, v16
	;; [unrolled: 1-line block ×6, first 2 shown]
	v_pk_add_f32 v[12:13], v[0:1], v[20:21]
	v_pk_add_f32 v[38:39], v[38:39], v[40:41] neg_lo:[0,1] neg_hi:[0,1]
	v_pk_add_f32 v[40:41], v[16:17], v[14:15] neg_lo:[0,1] neg_hi:[0,1]
	v_mov_b32_e32 v44, v2
	v_mov_b32_e32 v45, v11
	;; [unrolled: 1-line block ×5, first 2 shown]
	v_pk_add_f32 v[42:43], v[2:3], v[6:7]
	v_pk_add_f32 v[44:45], v[44:45], v[46:47] neg_lo:[0,1] neg_hi:[0,1]
	v_mov_b32_e32 v46, v10
	v_mov_b32_e32 v3, v7
	v_pk_add_f32 v[12:13], v[14:15], v[12:13]
	v_pk_add_f32 v[2:3], v[46:47], v[2:3] neg_lo:[0,1] neg_hi:[0,1]
	v_pk_add_f32 v[4:5], v[12:13], v[4:5]
	v_pk_mul_f32 v[16:17], v[38:39], s[12:13]
	v_pk_mul_f32 v[44:45], v[44:45], s[20:21]
	v_pk_add_f32 v[14:15], v[42:43], v[10:11]
	v_pk_mul_f32 v[38:39], v[40:41], s[14:15]
	v_pk_mul_f32 v[42:43], v[2:3], s[10:11]
	v_pk_fma_f32 v[12:13], v[12:13], s[2:3], v[4:5] op_sel_hi:[1,0,1] neg_lo:[1,0,0] neg_hi:[1,0,0]
	v_pk_fma_f32 v[40:41], v[40:41], s[14:15], v[16:17]
	v_pk_fma_f32 v[2:3], v[2:3], s[10:11], v[44:45]
	v_pk_add_f32 v[40:41], v[40:41], v[12:13]
	v_pk_fma_f32 v[2:3], v[14:15], s[8:9], v[2:3] op_sel_hi:[1,0,1]
	v_pk_add_f32 v[0:1], v[0:1], v[20:21] neg_lo:[0,1] neg_hi:[0,1]
	v_pk_add_f32 v[46:47], v[40:41], v[2:3]
	v_pk_add_f32 v[2:3], v[40:41], v[2:3] neg_lo:[0,1] neg_hi:[0,1]
	v_mov_b32_e32 v40, v46
	v_mov_b32_e32 v41, v3
	ds_write2_b64 v61, v[4:5], v[40:41] offset1:49
	v_pk_add_f32 v[4:5], v[6:7], v[10:11] neg_lo:[0,1] neg_hi:[0,1]
	v_mov_b32_e32 v6, v38
	v_mov_b32_e32 v7, v17
	;; [unrolled: 1-line block ×6, first 2 shown]
	v_pk_fma_f32 v[6:7], v[0:1], s[16:17], v[6:7] op_sel_hi:[1,0,1] neg_lo:[1,0,1] neg_hi:[1,0,1]
	v_pk_fma_f32 v[10:11], v[4:5], s[18:19], v[10:11] op_sel_hi:[1,0,1] neg_lo:[1,0,1] neg_hi:[1,0,1]
	;; [unrolled: 1-line block ×4, first 2 shown]
	v_pk_add_f32 v[6:7], v[6:7], v[12:13]
	v_pk_fma_f32 v[10:11], v[14:15], s[8:9], v[10:11] op_sel_hi:[1,0,1]
	v_pk_add_f32 v[0:1], v[0:1], v[12:13]
	v_pk_fma_f32 v[4:5], v[14:15], s[8:9], v[4:5] op_sel_hi:[1,0,1]
	v_pk_add_f32 v[20:21], v[6:7], v[10:11]
	v_pk_add_f32 v[6:7], v[6:7], v[10:11] neg_lo:[0,1] neg_hi:[0,1]
	v_pk_add_f32 v[12:13], v[0:1], v[4:5] neg_lo:[0,1] neg_hi:[0,1]
	v_pk_add_f32 v[0:1], v[0:1], v[4:5]
	v_mov_b32_e32 v10, v20
	v_mov_b32_e32 v11, v7
	;; [unrolled: 1-line block ×7, first 2 shown]
	ds_write2_b64 v61, v[10:11], v[4:5] offset0:98 offset1:147
	ds_write2_b64 v61, v[0:1], v[6:7] offset0:196 offset1:245
	ds_write_b64 v61, v[2:3] offset:2352
	s_waitcnt lgkmcnt(0)
	s_barrier
	ds_read2_b64 v[0:3], v61 offset1:49
	v_mov_b32_e32 v8, s0
	v_mov_b32_e32 v9, s1
	v_mad_u64_u32 v[18:19], s[0:1], s6, v22, 0
	v_mov_b32_e32 v4, v19
	v_mad_u64_u32 v[4:5], s[0:1], s7, v22, v[4:5]
	v_mov_b32_e32 v19, v4
	s_waitcnt lgkmcnt(0)
	v_mul_f32_e32 v4, v37, v1
	v_fmac_f32_e32 v4, v36, v0
	v_mul_f32_e32 v0, v37, v0
	s_mov_b32 s0, 0x515a4f1d
	v_fma_f32 v0, v36, v1, -v0
	v_cvt_f64_f32_e32 v[4:5], v4
	s_mov_b32 s1, 0x3f67e225
	v_cvt_f64_f32_e32 v[0:1], v0
	v_mul_f64 v[4:5], v[4:5], s[0:1]
	v_mul_f64 v[0:1], v[0:1], s[0:1]
	v_cvt_f32_f64_e32 v4, v[4:5]
	v_cvt_f32_f64_e32 v5, v[0:1]
	v_mad_u64_u32 v[0:1], s[2:3], s4, v60, 0
	v_mov_b32_e32 v6, v1
	v_mad_u64_u32 v[6:7], s[2:3], s5, v60, v[6:7]
	v_mov_b32_e32 v1, v6
	v_lshl_add_u64 v[6:7], v[18:19], 3, v[8:9]
	v_lshl_add_u64 v[6:7], v[0:1], 3, v[6:7]
	v_mul_f32_e32 v0, v35, v3
	v_fmac_f32_e32 v0, v34, v2
	v_cvt_f64_f32_e32 v[0:1], v0
	v_mul_f64 v[0:1], v[0:1], s[0:1]
	global_store_dwordx2 v[6:7], v[4:5], off
	v_cvt_f32_f64_e32 v4, v[0:1]
	v_mul_f32_e32 v0, v35, v2
	v_fma_f32 v0, v34, v3, -v0
	v_cvt_f64_f32_e32 v[0:1], v0
	v_mul_f64 v[0:1], v[0:1], s[0:1]
	v_cvt_f32_f64_e32 v5, v[0:1]
	ds_read2_b64 v[0:3], v61 offset0:98 offset1:147
	v_mad_u64_u32 v[6:7], s[2:3], s4, v23, v[6:7]
	s_mulk_i32 s5, 0x188
	v_add_u32_e32 v7, s5, v7
	global_store_dwordx2 v[6:7], v[4:5], off
	s_waitcnt lgkmcnt(0)
	v_mul_f32_e32 v4, v33, v1
	v_fmac_f32_e32 v4, v32, v0
	v_mul_f32_e32 v0, v33, v0
	v_fma_f32 v0, v32, v1, -v0
	v_cvt_f64_f32_e32 v[4:5], v4
	v_cvt_f64_f32_e32 v[0:1], v0
	v_mul_f64 v[4:5], v[4:5], s[0:1]
	v_mul_f64 v[0:1], v[0:1], s[0:1]
	v_cvt_f32_f64_e32 v4, v[4:5]
	v_cvt_f32_f64_e32 v5, v[0:1]
	v_mul_f32_e32 v0, v31, v3
	v_fmac_f32_e32 v0, v30, v2
	v_mad_u64_u32 v[6:7], s[2:3], s4, v23, v[6:7]
	v_cvt_f64_f32_e32 v[0:1], v0
	v_add_u32_e32 v7, s5, v7
	v_mul_f64 v[0:1], v[0:1], s[0:1]
	global_store_dwordx2 v[6:7], v[4:5], off
	v_cvt_f32_f64_e32 v4, v[0:1]
	v_mul_f32_e32 v0, v31, v2
	v_fma_f32 v0, v30, v3, -v0
	v_cvt_f64_f32_e32 v[0:1], v0
	v_mul_f64 v[0:1], v[0:1], s[0:1]
	v_cvt_f32_f64_e32 v5, v[0:1]
	ds_read2_b64 v[0:3], v61 offset0:196 offset1:245
	v_mad_u64_u32 v[6:7], s[2:3], s4, v23, v[6:7]
	v_add_u32_e32 v7, s5, v7
	global_store_dwordx2 v[6:7], v[4:5], off
	s_waitcnt lgkmcnt(0)
	v_mul_f32_e32 v4, v29, v1
	v_fmac_f32_e32 v4, v28, v0
	v_mul_f32_e32 v0, v29, v0
	v_fma_f32 v0, v28, v1, -v0
	v_cvt_f64_f32_e32 v[4:5], v4
	v_cvt_f64_f32_e32 v[0:1], v0
	v_mul_f64 v[4:5], v[4:5], s[0:1]
	v_mul_f64 v[0:1], v[0:1], s[0:1]
	v_cvt_f32_f64_e32 v4, v[4:5]
	v_cvt_f32_f64_e32 v5, v[0:1]
	v_mad_u64_u32 v[0:1], s[2:3], s4, v23, v[6:7]
	v_add_u32_e32 v1, s5, v1
	global_store_dwordx2 v[0:1], v[4:5], off
	v_mul_f32_e32 v4, v27, v3
	v_fmac_f32_e32 v4, v26, v2
	v_mul_f32_e32 v2, v27, v2
	v_fma_f32 v2, v26, v3, -v2
	v_cvt_f64_f32_e32 v[4:5], v4
	v_cvt_f64_f32_e32 v[2:3], v2
	v_mul_f64 v[4:5], v[4:5], s[0:1]
	v_mul_f64 v[2:3], v[2:3], s[0:1]
	v_cvt_f32_f64_e32 v4, v[4:5]
	v_cvt_f32_f64_e32 v5, v[2:3]
	ds_read_b64 v[2:3], v61 offset:2352
	v_mad_u64_u32 v[0:1], s[2:3], s4, v23, v[0:1]
	v_add_u32_e32 v1, s5, v1
	global_store_dwordx2 v[0:1], v[4:5], off
	s_waitcnt lgkmcnt(0)
	v_mul_f32_e32 v4, v25, v3
	v_fmac_f32_e32 v4, v24, v2
	v_mul_f32_e32 v2, v25, v2
	v_fma_f32 v2, v24, v3, -v2
	v_cvt_f64_f32_e32 v[4:5], v4
	v_cvt_f64_f32_e32 v[2:3], v2
	v_mul_f64 v[4:5], v[4:5], s[0:1]
	v_mul_f64 v[2:3], v[2:3], s[0:1]
	v_mad_u64_u32 v[0:1], s[0:1], s4, v23, v[0:1]
	v_cvt_f32_f64_e32 v4, v[4:5]
	v_cvt_f32_f64_e32 v5, v[2:3]
	v_add_u32_e32 v1, s5, v1
	global_store_dwordx2 v[0:1], v[4:5], off
.LBB0_2:
	s_endpgm
	.section	.rodata,"a",@progbits
	.p2align	6, 0x0
	.amdhsa_kernel bluestein_single_fwd_len343_dim1_sp_op_CI_CI
		.amdhsa_group_segment_fixed_size 13720
		.amdhsa_private_segment_fixed_size 0
		.amdhsa_kernarg_size 104
		.amdhsa_user_sgpr_count 2
		.amdhsa_user_sgpr_dispatch_ptr 0
		.amdhsa_user_sgpr_queue_ptr 0
		.amdhsa_user_sgpr_kernarg_segment_ptr 1
		.amdhsa_user_sgpr_dispatch_id 0
		.amdhsa_user_sgpr_kernarg_preload_length 0
		.amdhsa_user_sgpr_kernarg_preload_offset 0
		.amdhsa_user_sgpr_private_segment_size 0
		.amdhsa_uses_dynamic_stack 0
		.amdhsa_enable_private_segment 0
		.amdhsa_system_sgpr_workgroup_id_x 1
		.amdhsa_system_sgpr_workgroup_id_y 0
		.amdhsa_system_sgpr_workgroup_id_z 0
		.amdhsa_system_sgpr_workgroup_info 0
		.amdhsa_system_vgpr_workitem_id 0
		.amdhsa_next_free_vgpr 98
		.amdhsa_next_free_sgpr 26
		.amdhsa_accum_offset 100
		.amdhsa_reserve_vcc 1
		.amdhsa_float_round_mode_32 0
		.amdhsa_float_round_mode_16_64 0
		.amdhsa_float_denorm_mode_32 3
		.amdhsa_float_denorm_mode_16_64 3
		.amdhsa_dx10_clamp 1
		.amdhsa_ieee_mode 1
		.amdhsa_fp16_overflow 0
		.amdhsa_tg_split 0
		.amdhsa_exception_fp_ieee_invalid_op 0
		.amdhsa_exception_fp_denorm_src 0
		.amdhsa_exception_fp_ieee_div_zero 0
		.amdhsa_exception_fp_ieee_overflow 0
		.amdhsa_exception_fp_ieee_underflow 0
		.amdhsa_exception_fp_ieee_inexact 0
		.amdhsa_exception_int_div_zero 0
	.end_amdhsa_kernel
	.text
.Lfunc_end0:
	.size	bluestein_single_fwd_len343_dim1_sp_op_CI_CI, .Lfunc_end0-bluestein_single_fwd_len343_dim1_sp_op_CI_CI
                                        ; -- End function
	.section	.AMDGPU.csdata,"",@progbits
; Kernel info:
; codeLenInByte = 6240
; NumSgprs: 32
; NumVgprs: 98
; NumAgprs: 0
; TotalNumVgprs: 98
; ScratchSize: 0
; MemoryBound: 0
; FloatMode: 240
; IeeeMode: 1
; LDSByteSize: 13720 bytes/workgroup (compile time only)
; SGPRBlocks: 3
; VGPRBlocks: 12
; NumSGPRsForWavesPerEU: 32
; NumVGPRsForWavesPerEU: 98
; AccumOffset: 100
; Occupancy: 4
; WaveLimiterHint : 1
; COMPUTE_PGM_RSRC2:SCRATCH_EN: 0
; COMPUTE_PGM_RSRC2:USER_SGPR: 2
; COMPUTE_PGM_RSRC2:TRAP_HANDLER: 0
; COMPUTE_PGM_RSRC2:TGID_X_EN: 1
; COMPUTE_PGM_RSRC2:TGID_Y_EN: 0
; COMPUTE_PGM_RSRC2:TGID_Z_EN: 0
; COMPUTE_PGM_RSRC2:TIDIG_COMP_CNT: 0
; COMPUTE_PGM_RSRC3_GFX90A:ACCUM_OFFSET: 24
; COMPUTE_PGM_RSRC3_GFX90A:TG_SPLIT: 0
	.text
	.p2alignl 6, 3212836864
	.fill 256, 4, 3212836864
	.type	__hip_cuid_648a47d9619f2616,@object ; @__hip_cuid_648a47d9619f2616
	.section	.bss,"aw",@nobits
	.globl	__hip_cuid_648a47d9619f2616
__hip_cuid_648a47d9619f2616:
	.byte	0                               ; 0x0
	.size	__hip_cuid_648a47d9619f2616, 1

	.ident	"AMD clang version 19.0.0git (https://github.com/RadeonOpenCompute/llvm-project roc-6.4.0 25133 c7fe45cf4b819c5991fe208aaa96edf142730f1d)"
	.section	".note.GNU-stack","",@progbits
	.addrsig
	.addrsig_sym __hip_cuid_648a47d9619f2616
	.amdgpu_metadata
---
amdhsa.kernels:
  - .agpr_count:     0
    .args:
      - .actual_access:  read_only
        .address_space:  global
        .offset:         0
        .size:           8
        .value_kind:     global_buffer
      - .actual_access:  read_only
        .address_space:  global
        .offset:         8
        .size:           8
        .value_kind:     global_buffer
      - .actual_access:  read_only
        .address_space:  global
        .offset:         16
        .size:           8
        .value_kind:     global_buffer
      - .actual_access:  read_only
        .address_space:  global
        .offset:         24
        .size:           8
        .value_kind:     global_buffer
      - .actual_access:  read_only
        .address_space:  global
        .offset:         32
        .size:           8
        .value_kind:     global_buffer
      - .offset:         40
        .size:           8
        .value_kind:     by_value
      - .address_space:  global
        .offset:         48
        .size:           8
        .value_kind:     global_buffer
      - .address_space:  global
        .offset:         56
        .size:           8
        .value_kind:     global_buffer
      - .address_space:  global
        .offset:         64
        .size:           8
        .value_kind:     global_buffer
      - .address_space:  global
        .offset:         72
        .size:           8
        .value_kind:     global_buffer
      - .offset:         80
        .size:           4
        .value_kind:     by_value
      - .address_space:  global
        .offset:         88
        .size:           8
        .value_kind:     global_buffer
      - .address_space:  global
        .offset:         96
        .size:           8
        .value_kind:     global_buffer
    .group_segment_fixed_size: 13720
    .kernarg_segment_align: 8
    .kernarg_segment_size: 104
    .language:       OpenCL C
    .language_version:
      - 2
      - 0
    .max_flat_workgroup_size: 245
    .name:           bluestein_single_fwd_len343_dim1_sp_op_CI_CI
    .private_segment_fixed_size: 0
    .sgpr_count:     32
    .sgpr_spill_count: 0
    .symbol:         bluestein_single_fwd_len343_dim1_sp_op_CI_CI.kd
    .uniform_work_group_size: 1
    .uses_dynamic_stack: false
    .vgpr_count:     98
    .vgpr_spill_count: 0
    .wavefront_size: 64
amdhsa.target:   amdgcn-amd-amdhsa--gfx950
amdhsa.version:
  - 1
  - 2
...

	.end_amdgpu_metadata
